;; amdgpu-corpus repo=ROCm/rocFFT kind=compiled arch=gfx950 opt=O3
	.text
	.amdgcn_target "amdgcn-amd-amdhsa--gfx950"
	.amdhsa_code_object_version 6
	.protected	fft_rtc_fwd_len75_factors_3_5_5_wgs_120_tpt_15_dim1_sp_ip_CI_unitstride_sbrr_dirReg ; -- Begin function fft_rtc_fwd_len75_factors_3_5_5_wgs_120_tpt_15_dim1_sp_ip_CI_unitstride_sbrr_dirReg
	.globl	fft_rtc_fwd_len75_factors_3_5_5_wgs_120_tpt_15_dim1_sp_ip_CI_unitstride_sbrr_dirReg
	.p2align	8
	.type	fft_rtc_fwd_len75_factors_3_5_5_wgs_120_tpt_15_dim1_sp_ip_CI_unitstride_sbrr_dirReg,@function
fft_rtc_fwd_len75_factors_3_5_5_wgs_120_tpt_15_dim1_sp_ip_CI_unitstride_sbrr_dirReg: ; @fft_rtc_fwd_len75_factors_3_5_5_wgs_120_tpt_15_dim1_sp_ip_CI_unitstride_sbrr_dirReg
; %bb.0:
	s_load_dwordx4 s[8:11], s[0:1], 0x10
	s_load_dwordx2 s[4:5], s[0:1], 0x0
	s_load_dwordx2 s[6:7], s[0:1], 0x48
	v_mul_u32_u24_e32 v1, 0x1112, v0
	v_lshrrev_b32_e32 v19, 16, v1
	s_waitcnt lgkmcnt(0)
	s_load_dwordx2 s[0:1], s[8:9], 0x8
	v_lshl_add_u32 v2, s2, 3, v19
	v_mul_lo_u16_e32 v1, 15, v19
	v_mov_b32_e32 v3, 0
	v_sub_u16_e32 v18, v0, v1
	s_waitcnt lgkmcnt(0)
	v_mad_u64_u32 v[4:5], s[2:3], s0, v2, 0
	v_mov_b32_e32 v6, v5
	v_mad_u64_u32 v[6:7], s[0:1], s1, v2, v[6:7]
	v_mov_b32_e32 v5, v6
	v_cmp_gt_u64_e32 vcc, s[10:11], v[2:3]
	v_lshl_add_u64 v[0:1], v[4:5], 3, s[6:7]
	v_lshlrev_b32_e32 v2, 3, v18
                                        ; implicit-def: $vgpr8
                                        ; implicit-def: $vgpr4
                                        ; implicit-def: $vgpr6
                                        ; implicit-def: $vgpr10
                                        ; implicit-def: $vgpr12
                                        ; implicit-def: $vgpr14
	s_and_saveexec_b64 s[2:3], vcc
	s_cbranch_execz .LBB0_4
; %bb.1:
	v_mov_b32_e32 v3, 0
	v_lshl_add_u64 v[16:17], v[0:1], 0, v[2:3]
	global_load_dwordx2 v[14:15], v[16:17], off
	global_load_dwordx2 v[12:13], v[16:17], off offset:200
	global_load_dwordx2 v[10:11], v[16:17], off offset:400
	v_cmp_gt_u16_e64 s[0:1], 10, v18
                                        ; implicit-def: $vgpr7
                                        ; implicit-def: $vgpr5
                                        ; implicit-def: $vgpr9
	s_and_saveexec_b64 s[6:7], s[0:1]
	s_cbranch_execz .LBB0_3
; %bb.2:
	global_load_dwordx2 v[6:7], v[16:17], off offset:120
	global_load_dwordx2 v[4:5], v[16:17], off offset:320
	;; [unrolled: 1-line block ×3, first 2 shown]
.LBB0_3:
	s_or_b64 exec, exec, s[6:7]
	v_mov_b32_e32 v3, v18
.LBB0_4:
	s_or_b64 exec, exec, s[2:3]
	s_waitcnt vmcnt(1)
	v_pk_add_f32 v[20:21], v[12:13], v[14:15]
	s_waitcnt vmcnt(0)
	v_pk_add_f32 v[22:23], v[10:11], v[12:13]
	v_pk_add_f32 v[20:21], v[10:11], v[20:21]
	v_pk_add_f32 v[10:11], v[12:13], v[10:11] neg_lo:[0,1] neg_hi:[0,1]
	s_mov_b32 s2, 0x3f5db3d7
	v_and_b32_e32 v16, 7, v19
	v_pk_fma_f32 v[14:15], -0.5, v[22:23], v[14:15] op_sel_hi:[0,1,1]
	v_pk_mul_f32 v[10:11], v[10:11], s[2:3] op_sel_hi:[1,0]
	v_mul_u32_u24_e32 v17, 0x4b, v16
	v_mad_u32_u24 v16, v18, 24, 0
	v_pk_add_f32 v[12:13], v[14:15], v[10:11] op_sel:[0,1] op_sel_hi:[1,0]
	v_pk_add_f32 v[10:11], v[14:15], v[10:11] op_sel:[0,1] op_sel_hi:[1,0] neg_lo:[0,1] neg_hi:[0,1]
	v_lshl_add_u32 v19, v17, 3, v16
	v_mov_b32_e32 v14, v12
	v_mov_b32_e32 v15, v11
	;; [unrolled: 1-line block ×3, first 2 shown]
	v_cmp_gt_u16_e64 s[0:1], 10, v18
	ds_write2_b64 v19, v[20:21], v[14:15] offset1:1
	ds_write_b64 v19, v[10:11] offset:16
	s_and_saveexec_b64 s[6:7], s[0:1]
	s_cbranch_execz .LBB0_6
; %bb.5:
	v_pk_add_f32 v[10:11], v[4:5], v[6:7]
	v_pk_add_f32 v[12:13], v[8:9], v[4:5]
	v_pk_add_f32 v[4:5], v[4:5], v[8:9] neg_lo:[0,1] neg_hi:[0,1]
	v_pk_fma_f32 v[6:7], -0.5, v[12:13], v[6:7] op_sel_hi:[0,1,1]
	v_pk_mul_f32 v[4:5], v[4:5], s[2:3] op_sel_hi:[1,0]
	v_pk_add_f32 v[10:11], v[8:9], v[10:11]
	v_pk_add_f32 v[8:9], v[6:7], v[4:5] op_sel:[0,1] op_sel_hi:[1,0]
	v_pk_add_f32 v[4:5], v[6:7], v[4:5] op_sel:[0,1] op_sel_hi:[1,0] neg_lo:[0,1] neg_hi:[0,1]
	v_mov_b32_e32 v6, v8
	v_mov_b32_e32 v7, v5
	;; [unrolled: 1-line block ×3, first 2 shown]
	ds_write2_b64 v19, v[10:11], v[6:7] offset0:45 offset1:46
	ds_write_b64 v19, v[4:5] offset:376
.LBB0_6:
	s_or_b64 exec, exec, s[6:7]
	s_movk_i32 s0, 0xab
	v_mul_lo_u16_sdwa v4, v18, s0 dst_sel:DWORD dst_unused:UNUSED_PAD src0_sel:BYTE_0 src1_sel:DWORD
	v_lshrrev_b16_e32 v19, 9, v4
	v_mul_lo_u16_e32 v4, 3, v19
	v_sub_u16_e32 v26, v18, v4
	v_mov_b32_e32 v4, 5
	v_lshlrev_b32_sdwa v4, v4, v26 dst_sel:DWORD dst_unused:UNUSED_PAD src0_sel:DWORD src1_sel:BYTE_0
	s_waitcnt lgkmcnt(0)
	s_barrier
	global_load_dwordx4 v[6:9], v4, s[4:5]
	global_load_dwordx4 v[10:13], v4, s[4:5] offset:16
	v_lshlrev_b32_e32 v5, 4, v18
	v_lshlrev_b32_e32 v27, 3, v17
	v_sub_u32_e32 v5, v16, v5
	v_add3_u32 v2, 0, v27, v2
	v_add_u32_e32 v5, v5, v27
	ds_read2_b32 v[24:25], v2 offset1:1
	ds_read2_b64 v[14:17], v5 offset0:15 offset1:30
	ds_read2_b64 v[20:23], v5 offset0:45 offset1:60
	s_movk_i32 s1, 0x78
	v_mov_b32_e32 v4, 3
	v_mad_u32_u24 v19, v19, s1, 0
	v_lshlrev_b32_sdwa v26, v4, v26 dst_sel:DWORD dst_unused:UNUSED_PAD src0_sel:DWORD src1_sel:BYTE_0
	v_add3_u32 v19, v19, v26, v27
	s_mov_b32 s2, 0x3f737871
	s_mov_b32 s6, 0x3f167918
	;; [unrolled: 1-line block ×3, first 2 shown]
	s_waitcnt lgkmcnt(0)
	s_barrier
	s_waitcnt vmcnt(1)
	v_pk_mul_f32 v[26:27], v[6:7], v[14:15] op_sel:[0,1]
	v_pk_mul_f32 v[28:29], v[8:9], v[16:17] op_sel:[0,1]
	s_waitcnt vmcnt(0)
	v_pk_mul_f32 v[30:31], v[10:11], v[20:21] op_sel:[0,1]
	v_pk_mul_f32 v[32:33], v[12:13], v[22:23] op_sel:[0,1]
	v_pk_fma_f32 v[34:35], v[6:7], v[14:15], v[26:27] op_sel:[0,0,1] op_sel_hi:[1,1,0] neg_lo:[0,0,1] neg_hi:[0,0,1]
	v_pk_fma_f32 v[6:7], v[6:7], v[14:15], v[26:27] op_sel:[0,0,1] op_sel_hi:[1,0,0]
	v_pk_fma_f32 v[14:15], v[8:9], v[16:17], v[28:29] op_sel:[0,0,1] op_sel_hi:[1,1,0] neg_lo:[0,0,1] neg_hi:[0,0,1]
	v_pk_fma_f32 v[8:9], v[8:9], v[16:17], v[28:29] op_sel:[0,0,1] op_sel_hi:[1,0,0]
	;; [unrolled: 2-line block ×4, first 2 shown]
	v_mov_b32_e32 v35, v7
	v_mov_b32_e32 v15, v9
	;; [unrolled: 1-line block ×4, first 2 shown]
	v_pk_add_f32 v[6:7], v[34:35], v[24:25]
	v_pk_add_f32 v[8:9], v[14:15], v[16:17]
	v_pk_add_f32 v[10:11], v[34:35], v[20:21] neg_lo:[0,1] neg_hi:[0,1]
	v_pk_add_f32 v[12:13], v[14:15], v[16:17] neg_lo:[0,1] neg_hi:[0,1]
	;; [unrolled: 1-line block ×3, first 2 shown]
	v_pk_add_f32 v[28:29], v[34:35], v[20:21]
	v_pk_add_f32 v[30:31], v[14:15], v[34:35] neg_lo:[0,1] neg_hi:[0,1]
	v_pk_add_f32 v[6:7], v[6:7], v[14:15]
	v_pk_fma_f32 v[8:9], v[8:9], 0.5, v[24:25] op_sel_hi:[1,0,1] neg_lo:[1,0,0] neg_hi:[1,0,0]
	v_pk_mul_f32 v[14:15], v[10:11], s[2:3] op_sel_hi:[1,0]
	v_pk_add_f32 v[26:27], v[20:21], v[16:17] neg_lo:[0,1] neg_hi:[0,1]
	v_pk_add_f32 v[32:33], v[16:17], v[20:21] neg_lo:[0,1] neg_hi:[0,1]
	v_pk_mul_f32 v[34:35], v[12:13], s[6:7] op_sel_hi:[1,0]
	v_pk_fma_f32 v[24:25], v[28:29], 0.5, v[24:25] op_sel_hi:[1,0,1] neg_lo:[1,0,0] neg_hi:[1,0,0]
	v_pk_mul_f32 v[12:13], v[12:13], s[2:3] op_sel_hi:[1,0]
	v_pk_add_f32 v[6:7], v[6:7], v[16:17]
	v_pk_add_f32 v[16:17], v[8:9], v[14:15] op_sel:[0,1] op_sel_hi:[1,0]
	v_pk_add_f32 v[8:9], v[8:9], v[14:15] op_sel:[0,1] op_sel_hi:[1,0] neg_lo:[0,1] neg_hi:[0,1]
	v_pk_mul_f32 v[10:11], v[10:11], s[6:7] op_sel_hi:[1,0]
	v_pk_add_f32 v[14:15], v[24:25], v[12:13] op_sel:[0,1] op_sel_hi:[1,0] neg_lo:[0,1] neg_hi:[0,1]
	v_pk_add_f32 v[12:13], v[24:25], v[12:13] op_sel:[0,1] op_sel_hi:[1,0]
	v_pk_add_f32 v[8:9], v[8:9], v[34:35] op_sel:[0,1] op_sel_hi:[1,0] neg_lo:[0,1] neg_hi:[0,1]
	v_pk_add_f32 v[16:17], v[16:17], v[34:35] op_sel:[0,1] op_sel_hi:[1,0]
	v_pk_add_f32 v[22:23], v[22:23], v[26:27]
	v_pk_add_f32 v[12:13], v[12:13], v[10:11] op_sel:[0,1] op_sel_hi:[1,0] neg_lo:[0,1] neg_hi:[0,1]
	v_pk_add_f32 v[10:11], v[14:15], v[10:11] op_sel:[0,1] op_sel_hi:[1,0]
	v_mov_b32_e32 v14, v16
	v_mov_b32_e32 v15, v9
	v_pk_add_f32 v[26:27], v[30:31], v[32:33]
	v_pk_add_f32 v[6:7], v[6:7], v[20:21]
	v_mov_b32_e32 v20, v10
	v_mov_b32_e32 v21, v13
	;; [unrolled: 1-line block ×4, first 2 shown]
	v_pk_fma_f32 v[10:11], v[22:23], s[0:1], v[14:15] op_sel_hi:[1,0,1]
	v_pk_fma_f32 v[14:15], v[26:27], s[0:1], v[20:21] op_sel_hi:[1,0,1]
	;; [unrolled: 1-line block ×4, first 2 shown]
	ds_write2_b64 v19, v[6:7], v[10:11] offset1:3
	ds_write2_b64 v19, v[14:15], v[12:13] offset0:6 offset1:9
	ds_write_b64 v19, v[8:9] offset:96
	s_waitcnt lgkmcnt(0)
	s_barrier
	s_and_saveexec_b64 s[8:9], vcc
	s_cbranch_execz .LBB0_8
; %bb.7:
	v_lshlrev_b32_e32 v14, 5, v18
	global_load_dwordx4 v[6:9], v14, s[4:5] offset:96
	global_load_dwordx4 v[10:13], v14, s[4:5] offset:112
	ds_read2_b64 v[14:17], v5 offset0:15 offset1:30
	ds_read2_b64 v[18:21], v5 offset0:45 offset1:60
	ds_read2_b32 v[22:23], v2 offset1:1
	v_lshlrev_b32_sdwa v2, v4, v3 dst_sel:DWORD dst_unused:UNUSED_PAD src0_sel:DWORD src1_sel:WORD_0
	v_mov_b32_e32 v3, 0
	v_lshl_add_u64 v[0:1], v[0:1], 0, v[2:3]
	s_waitcnt vmcnt(1) lgkmcnt(2)
	v_pk_mul_f32 v[2:3], v[6:7], v[14:15] op_sel:[0,1]
	v_pk_mul_f32 v[4:5], v[8:9], v[16:17] op_sel:[0,1]
	s_waitcnt vmcnt(0) lgkmcnt(1)
	v_pk_mul_f32 v[24:25], v[12:13], v[20:21] op_sel:[0,1]
	v_pk_mul_f32 v[26:27], v[10:11], v[18:19] op_sel:[0,1]
	v_pk_fma_f32 v[28:29], v[6:7], v[14:15], v[2:3] op_sel:[0,0,1] op_sel_hi:[1,1,0] neg_lo:[0,0,1] neg_hi:[0,0,1]
	v_pk_fma_f32 v[2:3], v[6:7], v[14:15], v[2:3] op_sel:[0,0,1] op_sel_hi:[1,0,0]
	v_pk_fma_f32 v[6:7], v[8:9], v[16:17], v[4:5] op_sel:[0,0,1] op_sel_hi:[1,1,0] neg_lo:[0,0,1] neg_hi:[0,0,1]
	v_pk_fma_f32 v[4:5], v[8:9], v[16:17], v[4:5] op_sel:[0,0,1] op_sel_hi:[1,0,0]
	;; [unrolled: 2-line block ×4, first 2 shown]
	v_mov_b32_e32 v29, v3
	v_mov_b32_e32 v7, v5
	;; [unrolled: 1-line block ×4, first 2 shown]
	s_waitcnt lgkmcnt(0)
	v_pk_add_f32 v[2:3], v[28:29], v[22:23]
	v_pk_add_f32 v[4:5], v[28:29], v[8:9] neg_lo:[0,1] neg_hi:[0,1]
	v_pk_add_f32 v[12:13], v[6:7], v[14:15]
	v_pk_add_f32 v[10:11], v[6:7], v[14:15] neg_lo:[0,1] neg_hi:[0,1]
	v_pk_add_f32 v[16:17], v[28:29], v[6:7] neg_lo:[0,1] neg_hi:[0,1]
	;; [unrolled: 1-line block ×5, first 2 shown]
	v_pk_add_f32 v[26:27], v[28:29], v[8:9]
	v_pk_add_f32 v[2:3], v[6:7], v[2:3]
	v_pk_fma_f32 v[6:7], v[12:13], 0.5, v[22:23] op_sel_hi:[1,0,1] neg_lo:[1,0,0] neg_hi:[1,0,0]
	v_pk_mul_f32 v[12:13], v[4:5], s[2:3] op_sel_hi:[1,0]
	v_pk_mul_f32 v[28:29], v[10:11], s[6:7] op_sel_hi:[1,0]
	v_pk_add_f32 v[16:17], v[16:17], v[18:19]
	v_pk_add_f32 v[18:19], v[20:21], v[24:25]
	v_pk_fma_f32 v[20:21], v[26:27], 0.5, v[22:23] op_sel_hi:[1,0,1] neg_lo:[1,0,0] neg_hi:[1,0,0]
	v_pk_mul_f32 v[10:11], v[10:11], s[2:3] op_sel_hi:[1,0]
	v_pk_add_f32 v[2:3], v[14:15], v[2:3]
	v_pk_add_f32 v[14:15], v[6:7], v[12:13] op_sel:[0,1] op_sel_hi:[1,0]
	v_pk_add_f32 v[6:7], v[6:7], v[12:13] op_sel:[0,1] op_sel_hi:[1,0] neg_lo:[0,1] neg_hi:[0,1]
	v_pk_mul_f32 v[4:5], v[4:5], s[6:7] op_sel_hi:[1,0]
	v_pk_add_f32 v[12:13], v[20:21], v[10:11] op_sel:[0,1] op_sel_hi:[1,0] neg_lo:[0,1] neg_hi:[0,1]
	v_pk_add_f32 v[10:11], v[20:21], v[10:11] op_sel:[0,1] op_sel_hi:[1,0]
	v_pk_add_f32 v[2:3], v[8:9], v[2:3]
	v_pk_add_f32 v[6:7], v[6:7], v[28:29] op_sel:[0,1] op_sel_hi:[1,0] neg_lo:[0,1] neg_hi:[0,1]
	v_pk_add_f32 v[8:9], v[14:15], v[28:29] op_sel:[0,1] op_sel_hi:[1,0]
	v_pk_add_f32 v[10:11], v[10:11], v[4:5] op_sel:[0,1] op_sel_hi:[1,0] neg_lo:[0,1] neg_hi:[0,1]
	v_pk_add_f32 v[4:5], v[12:13], v[4:5] op_sel:[0,1] op_sel_hi:[1,0]
	global_store_dwordx2 v[0:1], v[2:3], off
	v_mov_b32_e32 v2, v8
	v_mov_b32_e32 v3, v7
	;; [unrolled: 1-line block ×6, first 2 shown]
	v_pk_fma_f32 v[2:3], v[16:17], s[0:1], v[2:3] op_sel_hi:[1,0,1]
	v_pk_fma_f32 v[4:5], v[18:19], s[0:1], v[12:13] op_sel_hi:[1,0,1]
	;; [unrolled: 1-line block ×4, first 2 shown]
	global_store_dwordx2 v[0:1], v[2:3], off offset:120
	global_store_dwordx2 v[0:1], v[4:5], off offset:240
	;; [unrolled: 1-line block ×4, first 2 shown]
.LBB0_8:
	s_endpgm
	.section	.rodata,"a",@progbits
	.p2align	6, 0x0
	.amdhsa_kernel fft_rtc_fwd_len75_factors_3_5_5_wgs_120_tpt_15_dim1_sp_ip_CI_unitstride_sbrr_dirReg
		.amdhsa_group_segment_fixed_size 0
		.amdhsa_private_segment_fixed_size 0
		.amdhsa_kernarg_size 80
		.amdhsa_user_sgpr_count 2
		.amdhsa_user_sgpr_dispatch_ptr 0
		.amdhsa_user_sgpr_queue_ptr 0
		.amdhsa_user_sgpr_kernarg_segment_ptr 1
		.amdhsa_user_sgpr_dispatch_id 0
		.amdhsa_user_sgpr_kernarg_preload_length 0
		.amdhsa_user_sgpr_kernarg_preload_offset 0
		.amdhsa_user_sgpr_private_segment_size 0
		.amdhsa_uses_dynamic_stack 0
		.amdhsa_enable_private_segment 0
		.amdhsa_system_sgpr_workgroup_id_x 1
		.amdhsa_system_sgpr_workgroup_id_y 0
		.amdhsa_system_sgpr_workgroup_id_z 0
		.amdhsa_system_sgpr_workgroup_info 0
		.amdhsa_system_vgpr_workitem_id 0
		.amdhsa_next_free_vgpr 36
		.amdhsa_next_free_sgpr 12
		.amdhsa_accum_offset 36
		.amdhsa_reserve_vcc 1
		.amdhsa_float_round_mode_32 0
		.amdhsa_float_round_mode_16_64 0
		.amdhsa_float_denorm_mode_32 3
		.amdhsa_float_denorm_mode_16_64 3
		.amdhsa_dx10_clamp 1
		.amdhsa_ieee_mode 1
		.amdhsa_fp16_overflow 0
		.amdhsa_tg_split 0
		.amdhsa_exception_fp_ieee_invalid_op 0
		.amdhsa_exception_fp_denorm_src 0
		.amdhsa_exception_fp_ieee_div_zero 0
		.amdhsa_exception_fp_ieee_overflow 0
		.amdhsa_exception_fp_ieee_underflow 0
		.amdhsa_exception_fp_ieee_inexact 0
		.amdhsa_exception_int_div_zero 0
	.end_amdhsa_kernel
	.text
.Lfunc_end0:
	.size	fft_rtc_fwd_len75_factors_3_5_5_wgs_120_tpt_15_dim1_sp_ip_CI_unitstride_sbrr_dirReg, .Lfunc_end0-fft_rtc_fwd_len75_factors_3_5_5_wgs_120_tpt_15_dim1_sp_ip_CI_unitstride_sbrr_dirReg
                                        ; -- End function
	.section	.AMDGPU.csdata,"",@progbits
; Kernel info:
; codeLenInByte = 1580
; NumSgprs: 18
; NumVgprs: 36
; NumAgprs: 0
; TotalNumVgprs: 36
; ScratchSize: 0
; MemoryBound: 0
; FloatMode: 240
; IeeeMode: 1
; LDSByteSize: 0 bytes/workgroup (compile time only)
; SGPRBlocks: 2
; VGPRBlocks: 4
; NumSGPRsForWavesPerEU: 18
; NumVGPRsForWavesPerEU: 36
; AccumOffset: 36
; Occupancy: 8
; WaveLimiterHint : 1
; COMPUTE_PGM_RSRC2:SCRATCH_EN: 0
; COMPUTE_PGM_RSRC2:USER_SGPR: 2
; COMPUTE_PGM_RSRC2:TRAP_HANDLER: 0
; COMPUTE_PGM_RSRC2:TGID_X_EN: 1
; COMPUTE_PGM_RSRC2:TGID_Y_EN: 0
; COMPUTE_PGM_RSRC2:TGID_Z_EN: 0
; COMPUTE_PGM_RSRC2:TIDIG_COMP_CNT: 0
; COMPUTE_PGM_RSRC3_GFX90A:ACCUM_OFFSET: 8
; COMPUTE_PGM_RSRC3_GFX90A:TG_SPLIT: 0
	.text
	.p2alignl 6, 3212836864
	.fill 256, 4, 3212836864
	.type	__hip_cuid_697333ba232bd407,@object ; @__hip_cuid_697333ba232bd407
	.section	.bss,"aw",@nobits
	.globl	__hip_cuid_697333ba232bd407
__hip_cuid_697333ba232bd407:
	.byte	0                               ; 0x0
	.size	__hip_cuid_697333ba232bd407, 1

	.ident	"AMD clang version 19.0.0git (https://github.com/RadeonOpenCompute/llvm-project roc-6.4.0 25133 c7fe45cf4b819c5991fe208aaa96edf142730f1d)"
	.section	".note.GNU-stack","",@progbits
	.addrsig
	.addrsig_sym __hip_cuid_697333ba232bd407
	.amdgpu_metadata
---
amdhsa.kernels:
  - .agpr_count:     0
    .args:
      - .actual_access:  read_only
        .address_space:  global
        .offset:         0
        .size:           8
        .value_kind:     global_buffer
      - .actual_access:  read_only
        .address_space:  global
        .offset:         8
        .size:           8
        .value_kind:     global_buffer
      - .actual_access:  read_only
        .address_space:  global
        .offset:         16
        .size:           8
        .value_kind:     global_buffer
      - .offset:         24
        .size:           8
        .value_kind:     by_value
      - .actual_access:  read_only
        .address_space:  global
        .offset:         32
        .size:           8
        .value_kind:     global_buffer
      - .actual_access:  read_only
        .address_space:  global
        .offset:         40
        .size:           8
        .value_kind:     global_buffer
      - .offset:         48
        .size:           4
        .value_kind:     by_value
      - .actual_access:  read_only
        .address_space:  global
        .offset:         56
        .size:           8
        .value_kind:     global_buffer
      - .actual_access:  read_only
        .address_space:  global
        .offset:         64
        .size:           8
        .value_kind:     global_buffer
      - .address_space:  global
        .offset:         72
        .size:           8
        .value_kind:     global_buffer
    .group_segment_fixed_size: 0
    .kernarg_segment_align: 8
    .kernarg_segment_size: 80
    .language:       OpenCL C
    .language_version:
      - 2
      - 0
    .max_flat_workgroup_size: 120
    .name:           fft_rtc_fwd_len75_factors_3_5_5_wgs_120_tpt_15_dim1_sp_ip_CI_unitstride_sbrr_dirReg
    .private_segment_fixed_size: 0
    .sgpr_count:     18
    .sgpr_spill_count: 0
    .symbol:         fft_rtc_fwd_len75_factors_3_5_5_wgs_120_tpt_15_dim1_sp_ip_CI_unitstride_sbrr_dirReg.kd
    .uniform_work_group_size: 1
    .uses_dynamic_stack: false
    .vgpr_count:     36
    .vgpr_spill_count: 0
    .wavefront_size: 64
amdhsa.target:   amdgcn-amd-amdhsa--gfx950
amdhsa.version:
  - 1
  - 2
...

	.end_amdgpu_metadata
